;; amdgpu-corpus repo=ROCm/rocFFT kind=compiled arch=gfx906 opt=O3
	.text
	.amdgcn_target "amdgcn-amd-amdhsa--gfx906"
	.amdhsa_code_object_version 6
	.protected	fft_rtc_back_len20_factors_5_4_wgs_250_tpt_10_halfLds_half_op_CI_CI_unitstride_sbrr_dirReg ; -- Begin function fft_rtc_back_len20_factors_5_4_wgs_250_tpt_10_halfLds_half_op_CI_CI_unitstride_sbrr_dirReg
	.globl	fft_rtc_back_len20_factors_5_4_wgs_250_tpt_10_halfLds_half_op_CI_CI_unitstride_sbrr_dirReg
	.p2align	8
	.type	fft_rtc_back_len20_factors_5_4_wgs_250_tpt_10_halfLds_half_op_CI_CI_unitstride_sbrr_dirReg,@function
fft_rtc_back_len20_factors_5_4_wgs_250_tpt_10_halfLds_half_op_CI_CI_unitstride_sbrr_dirReg: ; @fft_rtc_back_len20_factors_5_4_wgs_250_tpt_10_halfLds_half_op_CI_CI_unitstride_sbrr_dirReg
; %bb.0:
	v_mul_u32_u24_e32 v1, 0x199a, v0
	s_load_dwordx4 s[8:11], s[4:5], 0x58
	s_load_dwordx4 s[12:15], s[4:5], 0x0
	;; [unrolled: 1-line block ×3, first 2 shown]
	v_lshrrev_b32_e32 v1, 16, v1
	v_mad_u64_u32 v[5:6], s[0:1], s6, 25, v[1:2]
	v_mov_b32_e32 v10, 0
	s_waitcnt lgkmcnt(0)
	v_cmp_lt_u64_e64 s[0:1], s[14:15], 2
	v_mov_b32_e32 v8, 0
	v_mov_b32_e32 v6, v10
	;; [unrolled: 1-line block ×5, first 2 shown]
	s_and_b64 vcc, exec, s[0:1]
	v_mov_b32_e32 v2, v9
	v_mov_b32_e32 v4, v6
	s_cbranch_vccnz .LBB0_8
; %bb.1:
	s_load_dwordx2 s[0:1], s[4:5], 0x10
	s_add_u32 s2, s18, 8
	s_addc_u32 s3, s19, 0
	s_add_u32 s6, s16, 8
	s_addc_u32 s7, s17, 0
	v_mov_b32_e32 v8, 0
	s_waitcnt lgkmcnt(0)
	s_add_u32 s20, s0, 8
	v_mov_b32_e32 v9, 0
	v_mov_b32_e32 v1, v8
	;; [unrolled: 1-line block ×3, first 2 shown]
	s_addc_u32 s21, s1, 0
	s_mov_b64 s[22:23], 1
	v_mov_b32_e32 v2, v9
	v_mov_b32_e32 v6, v5
.LBB0_2:                                ; =>This Inner Loop Header: Depth=1
	s_load_dwordx2 s[24:25], s[20:21], 0x0
                                        ; implicit-def: $vgpr3_vgpr4
	s_waitcnt lgkmcnt(0)
	v_or_b32_e32 v11, s25, v7
	v_cmp_ne_u64_e32 vcc, 0, v[10:11]
	s_and_saveexec_b64 s[0:1], vcc
	s_xor_b64 s[26:27], exec, s[0:1]
	s_cbranch_execz .LBB0_4
; %bb.3:                                ;   in Loop: Header=BB0_2 Depth=1
	v_cvt_f32_u32_e32 v3, s24
	v_cvt_f32_u32_e32 v4, s25
	s_sub_u32 s0, 0, s24
	s_subb_u32 s1, 0, s25
	v_mac_f32_e32 v3, 0x4f800000, v4
	v_rcp_f32_e32 v3, v3
	v_mul_f32_e32 v3, 0x5f7ffffc, v3
	v_mul_f32_e32 v4, 0x2f800000, v3
	v_trunc_f32_e32 v4, v4
	v_mac_f32_e32 v3, 0xcf800000, v4
	v_cvt_u32_f32_e32 v4, v4
	v_cvt_u32_f32_e32 v3, v3
	v_mul_lo_u32 v11, s0, v4
	v_mul_hi_u32 v12, s0, v3
	v_mul_lo_u32 v14, s1, v3
	v_mul_lo_u32 v13, s0, v3
	v_add_u32_e32 v11, v12, v11
	v_add_u32_e32 v11, v11, v14
	v_mul_hi_u32 v12, v3, v13
	v_mul_lo_u32 v14, v3, v11
	v_mul_hi_u32 v16, v3, v11
	v_mul_hi_u32 v15, v4, v13
	v_mul_lo_u32 v13, v4, v13
	v_mul_hi_u32 v17, v4, v11
	v_add_co_u32_e32 v12, vcc, v12, v14
	v_addc_co_u32_e32 v14, vcc, 0, v16, vcc
	v_mul_lo_u32 v11, v4, v11
	v_add_co_u32_e32 v12, vcc, v12, v13
	v_addc_co_u32_e32 v12, vcc, v14, v15, vcc
	v_addc_co_u32_e32 v13, vcc, 0, v17, vcc
	v_add_co_u32_e32 v11, vcc, v12, v11
	v_addc_co_u32_e32 v12, vcc, 0, v13, vcc
	v_add_co_u32_e32 v3, vcc, v3, v11
	v_addc_co_u32_e32 v4, vcc, v4, v12, vcc
	v_mul_lo_u32 v11, s0, v4
	v_mul_hi_u32 v12, s0, v3
	v_mul_lo_u32 v13, s1, v3
	v_mul_lo_u32 v14, s0, v3
	v_add_u32_e32 v11, v12, v11
	v_add_u32_e32 v11, v11, v13
	v_mul_lo_u32 v15, v3, v11
	v_mul_hi_u32 v16, v3, v14
	v_mul_hi_u32 v17, v3, v11
	;; [unrolled: 1-line block ×3, first 2 shown]
	v_mul_lo_u32 v14, v4, v14
	v_mul_hi_u32 v12, v4, v11
	v_add_co_u32_e32 v15, vcc, v16, v15
	v_addc_co_u32_e32 v16, vcc, 0, v17, vcc
	v_mul_lo_u32 v11, v4, v11
	v_add_co_u32_e32 v14, vcc, v15, v14
	v_addc_co_u32_e32 v13, vcc, v16, v13, vcc
	v_addc_co_u32_e32 v12, vcc, 0, v12, vcc
	v_add_co_u32_e32 v11, vcc, v13, v11
	v_addc_co_u32_e32 v12, vcc, 0, v12, vcc
	v_add_co_u32_e32 v11, vcc, v3, v11
	v_addc_co_u32_e32 v12, vcc, v4, v12, vcc
	v_mad_u64_u32 v[3:4], s[0:1], v6, v12, 0
	v_mul_hi_u32 v13, v6, v11
	v_add_co_u32_e32 v13, vcc, v13, v3
	v_addc_co_u32_e32 v14, vcc, 0, v4, vcc
	v_mad_u64_u32 v[3:4], s[0:1], v7, v11, 0
	v_mad_u64_u32 v[11:12], s[0:1], v7, v12, 0
	v_add_co_u32_e32 v3, vcc, v13, v3
	v_addc_co_u32_e32 v3, vcc, v14, v4, vcc
	v_addc_co_u32_e32 v4, vcc, 0, v12, vcc
	v_add_co_u32_e32 v11, vcc, v3, v11
	v_addc_co_u32_e32 v12, vcc, 0, v4, vcc
	v_mul_lo_u32 v13, s25, v11
	v_mul_lo_u32 v14, s24, v12
	v_mad_u64_u32 v[3:4], s[0:1], s24, v11, 0
	v_add3_u32 v4, v4, v14, v13
	v_sub_u32_e32 v13, v7, v4
	v_mov_b32_e32 v14, s25
	v_sub_co_u32_e32 v3, vcc, v6, v3
	v_subb_co_u32_e64 v13, s[0:1], v13, v14, vcc
	v_subrev_co_u32_e64 v14, s[0:1], s24, v3
	v_subbrev_co_u32_e64 v13, s[0:1], 0, v13, s[0:1]
	v_cmp_le_u32_e64 s[0:1], s25, v13
	v_cndmask_b32_e64 v15, 0, -1, s[0:1]
	v_cmp_le_u32_e64 s[0:1], s24, v14
	v_cndmask_b32_e64 v14, 0, -1, s[0:1]
	v_cmp_eq_u32_e64 s[0:1], s25, v13
	v_cndmask_b32_e64 v13, v15, v14, s[0:1]
	v_add_co_u32_e64 v14, s[0:1], 2, v11
	v_addc_co_u32_e64 v15, s[0:1], 0, v12, s[0:1]
	v_add_co_u32_e64 v16, s[0:1], 1, v11
	v_addc_co_u32_e64 v17, s[0:1], 0, v12, s[0:1]
	v_subb_co_u32_e32 v4, vcc, v7, v4, vcc
	v_cmp_ne_u32_e64 s[0:1], 0, v13
	v_cmp_le_u32_e32 vcc, s25, v4
	v_cndmask_b32_e64 v13, v17, v15, s[0:1]
	v_cndmask_b32_e64 v15, 0, -1, vcc
	v_cmp_le_u32_e32 vcc, s24, v3
	v_cndmask_b32_e64 v3, 0, -1, vcc
	v_cmp_eq_u32_e32 vcc, s25, v4
	v_cndmask_b32_e32 v3, v15, v3, vcc
	v_cmp_ne_u32_e32 vcc, 0, v3
	v_cndmask_b32_e64 v3, v16, v14, s[0:1]
	v_cndmask_b32_e32 v4, v12, v13, vcc
	v_cndmask_b32_e32 v3, v11, v3, vcc
.LBB0_4:                                ;   in Loop: Header=BB0_2 Depth=1
	s_andn2_saveexec_b64 s[0:1], s[26:27]
	s_cbranch_execz .LBB0_6
; %bb.5:                                ;   in Loop: Header=BB0_2 Depth=1
	v_cvt_f32_u32_e32 v3, s24
	s_sub_i32 s26, 0, s24
	v_rcp_iflag_f32_e32 v3, v3
	v_mul_f32_e32 v3, 0x4f7ffffe, v3
	v_cvt_u32_f32_e32 v3, v3
	v_mul_lo_u32 v4, s26, v3
	v_mul_hi_u32 v4, v3, v4
	v_add_u32_e32 v3, v3, v4
	v_mul_hi_u32 v3, v6, v3
	v_mul_lo_u32 v4, v3, s24
	v_add_u32_e32 v11, 1, v3
	v_sub_u32_e32 v4, v6, v4
	v_subrev_u32_e32 v12, s24, v4
	v_cmp_le_u32_e32 vcc, s24, v4
	v_cndmask_b32_e32 v4, v4, v12, vcc
	v_cndmask_b32_e32 v3, v3, v11, vcc
	v_add_u32_e32 v11, 1, v3
	v_cmp_le_u32_e32 vcc, s24, v4
	v_cndmask_b32_e32 v3, v3, v11, vcc
	v_mov_b32_e32 v4, v10
.LBB0_6:                                ;   in Loop: Header=BB0_2 Depth=1
	s_or_b64 exec, exec, s[0:1]
	v_mul_lo_u32 v13, v4, s24
	v_mul_lo_u32 v14, v3, s25
	v_mad_u64_u32 v[11:12], s[0:1], v3, s24, 0
	s_load_dwordx2 s[0:1], s[6:7], 0x0
	s_load_dwordx2 s[24:25], s[2:3], 0x0
	v_add3_u32 v12, v12, v14, v13
	v_sub_co_u32_e32 v6, vcc, v6, v11
	v_subb_co_u32_e32 v7, vcc, v7, v12, vcc
	s_waitcnt lgkmcnt(0)
	v_mul_lo_u32 v11, s0, v7
	v_mul_lo_u32 v12, s1, v6
	v_mad_u64_u32 v[8:9], s[0:1], s0, v6, v[8:9]
	v_mul_lo_u32 v7, s24, v7
	v_mul_lo_u32 v13, s25, v6
	v_mad_u64_u32 v[1:2], s[0:1], s24, v6, v[1:2]
	s_add_u32 s22, s22, 1
	s_addc_u32 s23, s23, 0
	s_add_u32 s2, s2, 8
	v_add3_u32 v2, v13, v2, v7
	s_addc_u32 s3, s3, 0
	v_mov_b32_e32 v6, s14
	s_add_u32 s6, s6, 8
	v_mov_b32_e32 v7, s15
	s_addc_u32 s7, s7, 0
	v_cmp_ge_u64_e32 vcc, s[22:23], v[6:7]
	s_add_u32 s20, s20, 8
	v_add3_u32 v9, v12, v9, v11
	s_addc_u32 s21, s21, 0
	s_cbranch_vccnz .LBB0_8
; %bb.7:                                ;   in Loop: Header=BB0_2 Depth=1
	v_mov_b32_e32 v7, v4
	v_mov_b32_e32 v6, v3
	s_branch .LBB0_2
.LBB0_8:
	s_load_dwordx2 s[0:1], s[4:5], 0x28
	s_mov_b32 s4, 0x1999999a
	v_mul_hi_u32 v6, v0, s4
	s_lshl_b64 s[2:3], s[14:15], 3
	s_add_u32 s4, s18, s2
	s_waitcnt lgkmcnt(0)
	v_cmp_gt_u64_e32 vcc, s[0:1], v[3:4]
	v_mul_u32_u24_e32 v6, 10, v6
	v_sub_u32_e32 v6, v0, v6
	v_cmp_gt_u32_e64 s[0:1], 4, v6
	s_addc_u32 s5, s19, s3
	s_and_b64 s[14:15], vcc, s[0:1]
                                        ; implicit-def: $vgpr11
                                        ; implicit-def: $vgpr7
                                        ; implicit-def: $vgpr10
                                        ; implicit-def: $vgpr12
                                        ; implicit-def: $vgpr13
                                        ; implicit-def: $vgpr14
                                        ; implicit-def: $vgpr15
                                        ; implicit-def: $vgpr17
                                        ; implicit-def: $vgpr16
                                        ; implicit-def: $vgpr18
	s_and_saveexec_b64 s[6:7], s[14:15]
	s_cbranch_execz .LBB0_10
; %bb.9:
	s_add_u32 s2, s16, s2
	s_addc_u32 s3, s17, s3
	s_load_dwordx2 s[2:3], s[2:3], 0x0
	v_mov_b32_e32 v13, s9
	v_lshlrev_b64 v[8:9], 2, v[8:9]
	v_mov_b32_e32 v7, 0
	s_waitcnt lgkmcnt(0)
	v_mul_lo_u32 v0, s3, v3
	v_mul_lo_u32 v12, s2, v4
	v_mad_u64_u32 v[10:11], s[2:3], s2, v3, 0
	v_add3_u32 v11, v11, v12, v0
	v_lshlrev_b64 v[10:11], 2, v[10:11]
	v_add_co_u32_e64 v0, s[2:3], s8, v10
	v_addc_co_u32_e64 v10, s[2:3], v13, v11, s[2:3]
	v_add_co_u32_e64 v0, s[2:3], v0, v8
	v_lshlrev_b64 v[7:8], 2, v[6:7]
	v_addc_co_u32_e64 v10, s[2:3], v10, v9, s[2:3]
	v_add_co_u32_e64 v9, s[2:3], v0, v7
	v_addc_co_u32_e64 v10, s[2:3], v10, v8, s[2:3]
	global_load_dword v7, v[9:10], off
	global_load_dword v12, v[9:10], off offset:16
	global_load_dword v14, v[9:10], off offset:32
	;; [unrolled: 1-line block ×4, first 2 shown]
	s_waitcnt vmcnt(4)
	v_lshrrev_b32_e32 v11, 16, v7
	s_waitcnt vmcnt(3)
	v_lshrrev_b32_e32 v10, 16, v12
	;; [unrolled: 2-line block ×5, first 2 shown]
.LBB0_10:
	s_or_b64 exec, exec, s[6:7]
	s_mov_b32 s2, 0x51eb851f
	v_mul_hi_u32 v0, v5, s2
	v_add_f16_e32 v8, v7, v12
	v_add_f16_e32 v8, v8, v14
	v_sub_f16_e32 v21, v18, v17
	v_lshrrev_b32_e32 v0, 3, v0
	v_mul_lo_u32 v19, v0, 25
	v_add_f16_e32 v0, v8, v17
	v_sub_f16_e32 v8, v12, v14
	v_add_f16_e32 v9, v14, v17
	v_add_f16_e32 v23, v8, v21
	;; [unrolled: 1-line block ×3, first 2 shown]
	v_fma_f16 v9, v9, -0.5, v7
	s_movk_i32 s2, 0x3b9c
	s_mov_b32 s3, 0xbb9c
	v_sub_f16_e32 v22, v13, v15
	v_fma_f16 v7, v8, -0.5, v7
	v_sub_f16_e32 v8, v14, v12
	v_sub_f16_e32 v21, v17, v18
	v_sub_u32_e32 v5, v5, v19
	v_sub_f16_e32 v19, v10, v16
	s_movk_i32 s6, 0x38b4
	s_mov_b32 s7, 0xb8b4
	v_add_f16_e32 v8, v8, v21
	v_fma_f16 v21, v22, s2, v7
	v_fma_f16 v7, v22, s3, v7
	v_mul_u32_u24_e32 v20, 20, v5
	v_fma_f16 v5, v19, s3, v9
	v_fma_f16 v21, v19, s7, v21
	;; [unrolled: 1-line block ×4, first 2 shown]
	s_movk_i32 s8, 0x34f2
	v_mul_f16_e32 v8, 0x34f2, v8
	v_pack_b32_f16 v7, v21, v7
	v_add_f16_e32 v0, v0, v18
	v_fma_f16 v5, v23, s8, v5
	v_pk_add_f16 v8, v8, v7 op_sel_hi:[0,1]
	v_mul_u32_u24_e32 v21, 10, v6
	v_lshlrev_b32_e32 v20, 1, v20
	s_and_saveexec_b64 s[2:3], s[0:1]
	s_cbranch_execz .LBB0_12
; %bb.11:
	v_mul_f16_e32 v7, 0x3b9c, v19
	v_mul_f16_e32 v19, 0x38b4, v22
	v_add_f16_e32 v7, v9, v7
	v_mul_f16_e32 v22, 0x34f2, v23
	v_add_f16_e32 v7, v19, v7
	s_mov_b32 s6, 0x5040100
	v_add_f16_e32 v9, v22, v7
	v_add3_u32 v19, 0, v21, v20
	v_perm_b32 v7, v5, v0, s6
	ds_write_b64 v19, v[7:8]
	ds_write_b16 v19, v9 offset:8
.LBB0_12:
	s_or_b64 exec, exec, s[2:3]
	v_cmp_gt_u32_e64 s[2:3], 5, v6
	v_lshrrev_b32_e32 v9, 16, v8
	v_lshlrev_b32_e32 v7, 1, v6
	s_waitcnt lgkmcnt(0)
	s_barrier
	s_and_saveexec_b64 s[6:7], s[2:3]
	s_cbranch_execz .LBB0_14
; %bb.13:
	v_add3_u32 v0, 0, v20, v7
	v_add3_u32 v9, 0, v7, v20
	ds_read_u16 v0, v0
	ds_read_u16 v5, v9 offset:10
	ds_read_u16 v8, v9 offset:20
	;; [unrolled: 1-line block ×3, first 2 shown]
.LBB0_14:
	s_or_b64 exec, exec, s[6:7]
	v_sub_f16_e32 v14, v14, v17
	v_sub_f16_e32 v17, v10, v13
	;; [unrolled: 1-line block ×3, first 2 shown]
	v_add_f16_e32 v22, v13, v15
	v_add_f16_e32 v17, v17, v23
	;; [unrolled: 1-line block ×4, first 2 shown]
	v_fma_f16 v22, v22, -0.5, v11
	v_sub_f16_e32 v18, v12, v18
	s_movk_i32 s6, 0x3b9c
	v_fma_f16 v11, v23, -0.5, v11
	s_mov_b32 s9, 0xbb9c
	v_add_f16_e32 v19, v19, v13
	v_fma_f16 v12, v18, s6, v22
	s_movk_i32 s7, 0x38b4
	v_fma_f16 v23, v14, s9, v11
	v_sub_f16_e32 v10, v13, v10
	v_sub_f16_e32 v13, v15, v16
	v_fma_f16 v11, v14, s6, v11
	s_mov_b32 s6, 0xb8b4
	v_add_f16_e32 v19, v19, v15
	v_fma_f16 v12, v14, s7, v12
	v_fma_f16 v23, v18, s7, v23
	v_add_f16_e32 v13, v10, v13
	v_fma_f16 v11, v18, s6, v11
	v_add_f16_e32 v19, v19, v16
	v_fma_f16 v12, v17, s8, v12
	v_fma_f16 v10, v13, s8, v23
	;; [unrolled: 1-line block ×3, first 2 shown]
	s_waitcnt lgkmcnt(0)
	s_barrier
	s_and_saveexec_b64 s[6:7], s[0:1]
	s_cbranch_execz .LBB0_16
; %bb.15:
	v_mul_f16_e32 v13, 0x3b9c, v18
	v_mul_f16_e32 v14, 0x38b4, v14
	v_sub_f16_e32 v13, v22, v13
	v_mul_f16_e32 v15, 0x34f2, v17
	v_sub_f16_e32 v13, v13, v14
	s_mov_b32 s0, 0x5040100
	v_add_f16_e32 v15, v15, v13
	v_add3_u32 v16, 0, v21, v20
	v_perm_b32 v14, v11, v10, s0
	v_perm_b32 v13, v12, v19, s0
	ds_write_b64 v16, v[13:14]
	ds_write_b16 v16, v15 offset:8
.LBB0_16:
	s_or_b64 exec, exec, s[6:7]
	s_waitcnt lgkmcnt(0)
	s_barrier
	s_and_saveexec_b64 s[0:1], s[2:3]
	s_cbranch_execnz .LBB0_19
; %bb.17:
	s_or_b64 exec, exec, s[0:1]
	s_and_b64 s[0:1], vcc, s[2:3]
	s_and_saveexec_b64 s[2:3], s[0:1]
	s_cbranch_execnz .LBB0_20
.LBB0_18:
	s_endpgm
.LBB0_19:
	v_add3_u32 v10, 0, v20, v7
	v_add3_u32 v7, 0, v7, v20
	ds_read_u16 v19, v10
	ds_read_u16 v12, v7 offset:10
	ds_read_u16 v10, v7 offset:20
	;; [unrolled: 1-line block ×3, first 2 shown]
	s_or_b64 exec, exec, s[0:1]
	s_and_b64 s[0:1], vcc, s[2:3]
	s_and_saveexec_b64 s[2:3], s[0:1]
	s_cbranch_execz .LBB0_18
.LBB0_20:
	v_mul_u32_u24_e32 v7, 3, v6
	v_lshlrev_b32_e32 v7, 2, v7
	global_load_dwordx3 v[13:15], v7, s[12:13]
	s_load_dwordx2 s[0:1], s[4:5], 0x0
	v_mov_b32_e32 v18, s11
	v_lshlrev_b64 v[1:2], 2, v[1:2]
	v_mov_b32_e32 v7, 0
	v_lshlrev_b64 v[6:7], 2, v[6:7]
	s_waitcnt lgkmcnt(0)
	v_mul_lo_u32 v16, s1, v3
	v_mul_lo_u32 v17, s0, v4
	v_mad_u64_u32 v[3:4], s[0:1], s0, v3, 0
	v_add3_u32 v4, v4, v17, v16
	v_lshlrev_b64 v[3:4], 2, v[3:4]
	v_add_co_u32_e32 v3, vcc, s10, v3
	v_addc_co_u32_e32 v4, vcc, v18, v4, vcc
	v_add_co_u32_e32 v1, vcc, v3, v1
	v_addc_co_u32_e32 v2, vcc, v4, v2, vcc
	;; [unrolled: 2-line block ×3, first 2 shown]
	s_waitcnt vmcnt(0)
	v_mul_f16_sdwa v3, v10, v14 dst_sel:DWORD dst_unused:UNUSED_PAD src0_sel:DWORD src1_sel:WORD_1
	v_mul_f16_sdwa v4, v5, v13 dst_sel:DWORD dst_unused:UNUSED_PAD src0_sel:DWORD src1_sel:WORD_1
	;; [unrolled: 1-line block ×6, first 2 shown]
	v_fma_f16 v3, v8, v14, v3
	v_fma_f16 v4, v12, v13, -v4
	v_fma_f16 v6, v11, v15, -v6
	;; [unrolled: 1-line block ×3, first 2 shown]
	v_fma_f16 v5, v5, v13, v16
	v_fma_f16 v8, v9, v15, v17
	v_sub_f16_e32 v3, v0, v3
	v_sub_f16_e32 v6, v4, v6
	;; [unrolled: 1-line block ×4, first 2 shown]
	v_add_f16_e32 v9, v3, v6
	v_sub_f16_e32 v10, v7, v8
	v_fma_f16 v0, v0, 2.0, -v3
	v_fma_f16 v5, v5, 2.0, -v8
	;; [unrolled: 1-line block ×6, first 2 shown]
	v_sub_f16_e32 v5, v0, v5
	v_sub_f16_e32 v4, v8, v4
	v_fma_f16 v0, v0, 2.0, -v5
	v_fma_f16 v8, v8, 2.0, -v4
	v_pack_b32_f16 v3, v3, v6
	v_pack_b32_f16 v7, v9, v10
	;; [unrolled: 1-line block ×4, first 2 shown]
	global_store_dword v[1:2], v3, off offset:20
	global_store_dword v[1:2], v4, off offset:40
	global_store_dword v[1:2], v0, off
	global_store_dword v[1:2], v7, off offset:60
	s_endpgm
	.section	.rodata,"a",@progbits
	.p2align	6, 0x0
	.amdhsa_kernel fft_rtc_back_len20_factors_5_4_wgs_250_tpt_10_halfLds_half_op_CI_CI_unitstride_sbrr_dirReg
		.amdhsa_group_segment_fixed_size 0
		.amdhsa_private_segment_fixed_size 0
		.amdhsa_kernarg_size 104
		.amdhsa_user_sgpr_count 6
		.amdhsa_user_sgpr_private_segment_buffer 1
		.amdhsa_user_sgpr_dispatch_ptr 0
		.amdhsa_user_sgpr_queue_ptr 0
		.amdhsa_user_sgpr_kernarg_segment_ptr 1
		.amdhsa_user_sgpr_dispatch_id 0
		.amdhsa_user_sgpr_flat_scratch_init 0
		.amdhsa_user_sgpr_private_segment_size 0
		.amdhsa_uses_dynamic_stack 0
		.amdhsa_system_sgpr_private_segment_wavefront_offset 0
		.amdhsa_system_sgpr_workgroup_id_x 1
		.amdhsa_system_sgpr_workgroup_id_y 0
		.amdhsa_system_sgpr_workgroup_id_z 0
		.amdhsa_system_sgpr_workgroup_info 0
		.amdhsa_system_vgpr_workitem_id 0
		.amdhsa_next_free_vgpr 24
		.amdhsa_next_free_sgpr 28
		.amdhsa_reserve_vcc 1
		.amdhsa_reserve_flat_scratch 0
		.amdhsa_float_round_mode_32 0
		.amdhsa_float_round_mode_16_64 0
		.amdhsa_float_denorm_mode_32 3
		.amdhsa_float_denorm_mode_16_64 3
		.amdhsa_dx10_clamp 1
		.amdhsa_ieee_mode 1
		.amdhsa_fp16_overflow 0
		.amdhsa_exception_fp_ieee_invalid_op 0
		.amdhsa_exception_fp_denorm_src 0
		.amdhsa_exception_fp_ieee_div_zero 0
		.amdhsa_exception_fp_ieee_overflow 0
		.amdhsa_exception_fp_ieee_underflow 0
		.amdhsa_exception_fp_ieee_inexact 0
		.amdhsa_exception_int_div_zero 0
	.end_amdhsa_kernel
	.text
.Lfunc_end0:
	.size	fft_rtc_back_len20_factors_5_4_wgs_250_tpt_10_halfLds_half_op_CI_CI_unitstride_sbrr_dirReg, .Lfunc_end0-fft_rtc_back_len20_factors_5_4_wgs_250_tpt_10_halfLds_half_op_CI_CI_unitstride_sbrr_dirReg
                                        ; -- End function
	.section	.AMDGPU.csdata,"",@progbits
; Kernel info:
; codeLenInByte = 2532
; NumSgprs: 32
; NumVgprs: 24
; ScratchSize: 0
; MemoryBound: 0
; FloatMode: 240
; IeeeMode: 1
; LDSByteSize: 0 bytes/workgroup (compile time only)
; SGPRBlocks: 3
; VGPRBlocks: 5
; NumSGPRsForWavesPerEU: 32
; NumVGPRsForWavesPerEU: 24
; Occupancy: 10
; WaveLimiterHint : 1
; COMPUTE_PGM_RSRC2:SCRATCH_EN: 0
; COMPUTE_PGM_RSRC2:USER_SGPR: 6
; COMPUTE_PGM_RSRC2:TRAP_HANDLER: 0
; COMPUTE_PGM_RSRC2:TGID_X_EN: 1
; COMPUTE_PGM_RSRC2:TGID_Y_EN: 0
; COMPUTE_PGM_RSRC2:TGID_Z_EN: 0
; COMPUTE_PGM_RSRC2:TIDIG_COMP_CNT: 0
	.type	__hip_cuid_c2a61aaeaeb4353b,@object ; @__hip_cuid_c2a61aaeaeb4353b
	.section	.bss,"aw",@nobits
	.globl	__hip_cuid_c2a61aaeaeb4353b
__hip_cuid_c2a61aaeaeb4353b:
	.byte	0                               ; 0x0
	.size	__hip_cuid_c2a61aaeaeb4353b, 1

	.ident	"AMD clang version 19.0.0git (https://github.com/RadeonOpenCompute/llvm-project roc-6.4.0 25133 c7fe45cf4b819c5991fe208aaa96edf142730f1d)"
	.section	".note.GNU-stack","",@progbits
	.addrsig
	.addrsig_sym __hip_cuid_c2a61aaeaeb4353b
	.amdgpu_metadata
---
amdhsa.kernels:
  - .args:
      - .actual_access:  read_only
        .address_space:  global
        .offset:         0
        .size:           8
        .value_kind:     global_buffer
      - .offset:         8
        .size:           8
        .value_kind:     by_value
      - .actual_access:  read_only
        .address_space:  global
        .offset:         16
        .size:           8
        .value_kind:     global_buffer
      - .actual_access:  read_only
        .address_space:  global
        .offset:         24
        .size:           8
        .value_kind:     global_buffer
      - .actual_access:  read_only
        .address_space:  global
        .offset:         32
        .size:           8
        .value_kind:     global_buffer
      - .offset:         40
        .size:           8
        .value_kind:     by_value
      - .actual_access:  read_only
        .address_space:  global
        .offset:         48
        .size:           8
        .value_kind:     global_buffer
      - .actual_access:  read_only
        .address_space:  global
        .offset:         56
        .size:           8
        .value_kind:     global_buffer
      - .offset:         64
        .size:           4
        .value_kind:     by_value
      - .actual_access:  read_only
        .address_space:  global
        .offset:         72
        .size:           8
        .value_kind:     global_buffer
      - .actual_access:  read_only
        .address_space:  global
        .offset:         80
        .size:           8
        .value_kind:     global_buffer
      - .actual_access:  read_only
        .address_space:  global
        .offset:         88
        .size:           8
        .value_kind:     global_buffer
      - .actual_access:  write_only
        .address_space:  global
        .offset:         96
        .size:           8
        .value_kind:     global_buffer
    .group_segment_fixed_size: 0
    .kernarg_segment_align: 8
    .kernarg_segment_size: 104
    .language:       OpenCL C
    .language_version:
      - 2
      - 0
    .max_flat_workgroup_size: 250
    .name:           fft_rtc_back_len20_factors_5_4_wgs_250_tpt_10_halfLds_half_op_CI_CI_unitstride_sbrr_dirReg
    .private_segment_fixed_size: 0
    .sgpr_count:     32
    .sgpr_spill_count: 0
    .symbol:         fft_rtc_back_len20_factors_5_4_wgs_250_tpt_10_halfLds_half_op_CI_CI_unitstride_sbrr_dirReg.kd
    .uniform_work_group_size: 1
    .uses_dynamic_stack: false
    .vgpr_count:     24
    .vgpr_spill_count: 0
    .wavefront_size: 64
amdhsa.target:   amdgcn-amd-amdhsa--gfx906
amdhsa.version:
  - 1
  - 2
...

	.end_amdgpu_metadata
